;; amdgpu-corpus repo=ROCm/rocFFT kind=compiled arch=gfx906 opt=O3
	.text
	.amdgcn_target "amdgcn-amd-amdhsa--gfx906"
	.amdhsa_code_object_version 6
	.protected	fft_rtc_fwd_len156_factors_3_4_13_wgs_117_tpt_13_sp_ip_CI_unitstride_sbrr_R2C_dirReg ; -- Begin function fft_rtc_fwd_len156_factors_3_4_13_wgs_117_tpt_13_sp_ip_CI_unitstride_sbrr_R2C_dirReg
	.globl	fft_rtc_fwd_len156_factors_3_4_13_wgs_117_tpt_13_sp_ip_CI_unitstride_sbrr_R2C_dirReg
	.p2align	8
	.type	fft_rtc_fwd_len156_factors_3_4_13_wgs_117_tpt_13_sp_ip_CI_unitstride_sbrr_R2C_dirReg,@function
fft_rtc_fwd_len156_factors_3_4_13_wgs_117_tpt_13_sp_ip_CI_unitstride_sbrr_R2C_dirReg: ; @fft_rtc_fwd_len156_factors_3_4_13_wgs_117_tpt_13_sp_ip_CI_unitstride_sbrr_R2C_dirReg
; %bb.0:
	s_load_dwordx2 s[2:3], s[4:5], 0x50
	s_load_dwordx4 s[8:11], s[4:5], 0x0
	s_load_dwordx2 s[12:13], s[4:5], 0x18
	v_mul_u32_u24_e32 v1, 0x13b2, v0
	v_lshrrev_b32_e32 v1, 16, v1
	v_mad_u64_u32 v[1:2], s[0:1], s6, 9, v[1:2]
	v_mov_b32_e32 v5, 0
	s_waitcnt lgkmcnt(0)
	v_cmp_lt_u64_e64 s[0:1], s[10:11], 2
	v_mov_b32_e32 v2, v5
	v_mov_b32_e32 v3, 0
	;; [unrolled: 1-line block ×3, first 2 shown]
	s_and_b64 vcc, exec, s[0:1]
	v_mov_b32_e32 v4, 0
	v_mov_b32_e32 v9, v1
	s_cbranch_vccnz .LBB0_8
; %bb.1:
	s_load_dwordx2 s[0:1], s[4:5], 0x10
	s_add_u32 s6, s12, 8
	s_addc_u32 s7, s13, 0
	v_mov_b32_e32 v3, 0
	v_mov_b32_e32 v8, v2
	s_waitcnt lgkmcnt(0)
	s_add_u32 s16, s0, 8
	s_mov_b64 s[14:15], 1
	v_mov_b32_e32 v4, 0
	s_addc_u32 s17, s1, 0
	v_mov_b32_e32 v7, v1
.LBB0_2:                                ; =>This Inner Loop Header: Depth=1
	s_load_dwordx2 s[18:19], s[16:17], 0x0
                                        ; implicit-def: $vgpr9_vgpr10
	s_waitcnt lgkmcnt(0)
	v_or_b32_e32 v6, s19, v8
	v_cmp_ne_u64_e32 vcc, 0, v[5:6]
	s_and_saveexec_b64 s[0:1], vcc
	s_xor_b64 s[20:21], exec, s[0:1]
	s_cbranch_execz .LBB0_4
; %bb.3:                                ;   in Loop: Header=BB0_2 Depth=1
	v_cvt_f32_u32_e32 v2, s18
	v_cvt_f32_u32_e32 v6, s19
	s_sub_u32 s0, 0, s18
	s_subb_u32 s1, 0, s19
	v_mac_f32_e32 v2, 0x4f800000, v6
	v_rcp_f32_e32 v2, v2
	v_mul_f32_e32 v2, 0x5f7ffffc, v2
	v_mul_f32_e32 v6, 0x2f800000, v2
	v_trunc_f32_e32 v6, v6
	v_mac_f32_e32 v2, 0xcf800000, v6
	v_cvt_u32_f32_e32 v6, v6
	v_cvt_u32_f32_e32 v2, v2
	v_mul_lo_u32 v9, s0, v6
	v_mul_hi_u32 v10, s0, v2
	v_mul_lo_u32 v12, s1, v2
	v_mul_lo_u32 v11, s0, v2
	v_add_u32_e32 v9, v10, v9
	v_add_u32_e32 v9, v9, v12
	v_mul_hi_u32 v10, v2, v11
	v_mul_lo_u32 v12, v2, v9
	v_mul_hi_u32 v14, v2, v9
	v_mul_hi_u32 v13, v6, v11
	v_mul_lo_u32 v11, v6, v11
	v_mul_hi_u32 v15, v6, v9
	v_add_co_u32_e32 v10, vcc, v10, v12
	v_addc_co_u32_e32 v12, vcc, 0, v14, vcc
	v_mul_lo_u32 v9, v6, v9
	v_add_co_u32_e32 v10, vcc, v10, v11
	v_addc_co_u32_e32 v10, vcc, v12, v13, vcc
	v_addc_co_u32_e32 v11, vcc, 0, v15, vcc
	v_add_co_u32_e32 v9, vcc, v10, v9
	v_addc_co_u32_e32 v10, vcc, 0, v11, vcc
	v_add_co_u32_e32 v2, vcc, v2, v9
	v_addc_co_u32_e32 v6, vcc, v6, v10, vcc
	v_mul_lo_u32 v9, s0, v6
	v_mul_hi_u32 v10, s0, v2
	v_mul_lo_u32 v11, s1, v2
	v_mul_lo_u32 v12, s0, v2
	v_add_u32_e32 v9, v10, v9
	v_add_u32_e32 v9, v9, v11
	v_mul_lo_u32 v13, v2, v9
	v_mul_hi_u32 v14, v2, v12
	v_mul_hi_u32 v15, v2, v9
	;; [unrolled: 1-line block ×3, first 2 shown]
	v_mul_lo_u32 v12, v6, v12
	v_mul_hi_u32 v10, v6, v9
	v_add_co_u32_e32 v13, vcc, v14, v13
	v_addc_co_u32_e32 v14, vcc, 0, v15, vcc
	v_mul_lo_u32 v9, v6, v9
	v_add_co_u32_e32 v12, vcc, v13, v12
	v_addc_co_u32_e32 v11, vcc, v14, v11, vcc
	v_addc_co_u32_e32 v10, vcc, 0, v10, vcc
	v_add_co_u32_e32 v9, vcc, v11, v9
	v_addc_co_u32_e32 v10, vcc, 0, v10, vcc
	v_add_co_u32_e32 v2, vcc, v2, v9
	v_addc_co_u32_e32 v6, vcc, v6, v10, vcc
	v_mad_u64_u32 v[9:10], s[0:1], v7, v6, 0
	v_mul_hi_u32 v11, v7, v2
	v_add_co_u32_e32 v13, vcc, v11, v9
	v_addc_co_u32_e32 v14, vcc, 0, v10, vcc
	v_mad_u64_u32 v[9:10], s[0:1], v8, v2, 0
	v_mad_u64_u32 v[11:12], s[0:1], v8, v6, 0
	v_add_co_u32_e32 v2, vcc, v13, v9
	v_addc_co_u32_e32 v2, vcc, v14, v10, vcc
	v_addc_co_u32_e32 v6, vcc, 0, v12, vcc
	v_add_co_u32_e32 v2, vcc, v2, v11
	v_addc_co_u32_e32 v6, vcc, 0, v6, vcc
	v_mul_lo_u32 v11, s19, v2
	v_mul_lo_u32 v12, s18, v6
	v_mad_u64_u32 v[9:10], s[0:1], s18, v2, 0
	v_add3_u32 v10, v10, v12, v11
	v_sub_u32_e32 v11, v8, v10
	v_mov_b32_e32 v12, s19
	v_sub_co_u32_e32 v9, vcc, v7, v9
	v_subb_co_u32_e64 v11, s[0:1], v11, v12, vcc
	v_subrev_co_u32_e64 v12, s[0:1], s18, v9
	v_subbrev_co_u32_e64 v11, s[0:1], 0, v11, s[0:1]
	v_cmp_le_u32_e64 s[0:1], s19, v11
	v_cndmask_b32_e64 v13, 0, -1, s[0:1]
	v_cmp_le_u32_e64 s[0:1], s18, v12
	v_cndmask_b32_e64 v12, 0, -1, s[0:1]
	v_cmp_eq_u32_e64 s[0:1], s19, v11
	v_cndmask_b32_e64 v11, v13, v12, s[0:1]
	v_add_co_u32_e64 v12, s[0:1], 2, v2
	v_addc_co_u32_e64 v13, s[0:1], 0, v6, s[0:1]
	v_add_co_u32_e64 v14, s[0:1], 1, v2
	v_addc_co_u32_e64 v15, s[0:1], 0, v6, s[0:1]
	v_subb_co_u32_e32 v10, vcc, v8, v10, vcc
	v_cmp_ne_u32_e64 s[0:1], 0, v11
	v_cmp_le_u32_e32 vcc, s19, v10
	v_cndmask_b32_e64 v11, v15, v13, s[0:1]
	v_cndmask_b32_e64 v13, 0, -1, vcc
	v_cmp_le_u32_e32 vcc, s18, v9
	v_cndmask_b32_e64 v9, 0, -1, vcc
	v_cmp_eq_u32_e32 vcc, s19, v10
	v_cndmask_b32_e32 v9, v13, v9, vcc
	v_cmp_ne_u32_e32 vcc, 0, v9
	v_cndmask_b32_e32 v10, v6, v11, vcc
	v_cndmask_b32_e64 v6, v14, v12, s[0:1]
	v_cndmask_b32_e32 v9, v2, v6, vcc
.LBB0_4:                                ;   in Loop: Header=BB0_2 Depth=1
	s_andn2_saveexec_b64 s[0:1], s[20:21]
	s_cbranch_execz .LBB0_6
; %bb.5:                                ;   in Loop: Header=BB0_2 Depth=1
	v_cvt_f32_u32_e32 v2, s18
	s_sub_i32 s20, 0, s18
	v_rcp_iflag_f32_e32 v2, v2
	v_mul_f32_e32 v2, 0x4f7ffffe, v2
	v_cvt_u32_f32_e32 v2, v2
	v_mul_lo_u32 v6, s20, v2
	v_mul_hi_u32 v6, v2, v6
	v_add_u32_e32 v2, v2, v6
	v_mul_hi_u32 v2, v7, v2
	v_mul_lo_u32 v6, v2, s18
	v_add_u32_e32 v9, 1, v2
	v_sub_u32_e32 v6, v7, v6
	v_subrev_u32_e32 v10, s18, v6
	v_cmp_le_u32_e32 vcc, s18, v6
	v_cndmask_b32_e32 v6, v6, v10, vcc
	v_cndmask_b32_e32 v2, v2, v9, vcc
	v_add_u32_e32 v9, 1, v2
	v_cmp_le_u32_e32 vcc, s18, v6
	v_cndmask_b32_e32 v9, v2, v9, vcc
	v_mov_b32_e32 v10, v5
.LBB0_6:                                ;   in Loop: Header=BB0_2 Depth=1
	s_or_b64 exec, exec, s[0:1]
	v_mul_lo_u32 v2, v10, s18
	v_mul_lo_u32 v6, v9, s19
	v_mad_u64_u32 v[11:12], s[0:1], v9, s18, 0
	s_load_dwordx2 s[0:1], s[6:7], 0x0
	s_add_u32 s14, s14, 1
	v_add3_u32 v2, v12, v6, v2
	v_sub_co_u32_e32 v6, vcc, v7, v11
	v_subb_co_u32_e32 v2, vcc, v8, v2, vcc
	s_waitcnt lgkmcnt(0)
	v_mul_lo_u32 v2, s0, v2
	v_mul_lo_u32 v7, s1, v6
	v_mad_u64_u32 v[3:4], s[0:1], s0, v6, v[3:4]
	s_addc_u32 s15, s15, 0
	s_add_u32 s6, s6, 8
	v_add3_u32 v4, v7, v4, v2
	v_mov_b32_e32 v6, s10
	v_mov_b32_e32 v7, s11
	s_addc_u32 s7, s7, 0
	v_cmp_ge_u64_e32 vcc, s[14:15], v[6:7]
	s_add_u32 s16, s16, 8
	s_addc_u32 s17, s17, 0
	s_cbranch_vccnz .LBB0_8
; %bb.7:                                ;   in Loop: Header=BB0_2 Depth=1
	v_mov_b32_e32 v7, v9
	v_mov_b32_e32 v8, v10
	s_branch .LBB0_2
.LBB0_8:
	s_lshl_b64 s[0:1], s[10:11], 3
	s_add_u32 s0, s12, s0
	s_addc_u32 s1, s13, s1
	s_load_dwordx2 s[0:1], s[0:1], 0x0
	s_mov_b32 s6, 0x38e38e39
	v_mul_hi_u32 v5, v1, s6
	s_waitcnt lgkmcnt(0)
	v_mul_lo_u32 v6, s0, v10
	v_mul_lo_u32 v7, s1, v9
	v_mad_u64_u32 v[2:3], s[0:1], s0, v9, v[3:4]
	s_load_dwordx2 s[0:1], s[4:5], 0x20
	s_mov_b32 s4, 0x13b13b14
	v_lshrrev_b32_e32 v4, 1, v5
	v_mul_hi_u32 v5, v0, s4
	v_lshl_add_u32 v4, v4, 3, v4
	v_sub_u32_e32 v1, v1, v4
	s_waitcnt lgkmcnt(0)
	v_cmp_gt_u64_e32 vcc, s[0:1], v[9:10]
	v_mul_u32_u24_e32 v4, 13, v5
	v_cmp_le_u64_e64 s[0:1], s[0:1], v[9:10]
	v_sub_u32_e32 v24, v0, v4
	v_add3_u32 v3, v7, v3, v6
	v_add_u32_e32 v30, 13, v24
	v_add_u32_e32 v32, 26, v24
	;; [unrolled: 1-line block ×3, first 2 shown]
	s_and_saveexec_b64 s[4:5], s[0:1]
	s_xor_b64 s[0:1], exec, s[4:5]
; %bb.9:
	v_add_u32_e32 v30, 13, v24
	v_add_u32_e32 v32, 26, v24
	;; [unrolled: 1-line block ×3, first 2 shown]
; %bb.10:
	s_or_saveexec_b64 s[4:5], s[0:1]
	v_mul_u32_u24_e32 v0, 0x9d, v1
	v_lshlrev_b64 v[26:27], 3, v[2:3]
	v_lshlrev_b32_e32 v0, 3, v0
	v_lshlrev_b32_e32 v29, 3, v24
	s_xor_b64 exec, exec, s[4:5]
	s_cbranch_execz .LBB0_12
; %bb.11:
	v_mov_b32_e32 v25, 0
	v_mov_b32_e32 v1, s3
	v_add_co_u32_e64 v3, s[0:1], s2, v26
	v_addc_co_u32_e64 v4, s[0:1], v1, v27, s[0:1]
	v_lshlrev_b64 v[1:2], 3, v[24:25]
	v_add_co_u32_e64 v1, s[0:1], v3, v1
	v_addc_co_u32_e64 v2, s[0:1], v4, v2, s[0:1]
	global_load_dwordx2 v[3:4], v[1:2], off
	global_load_dwordx2 v[5:6], v[1:2], off offset:104
	global_load_dwordx2 v[7:8], v[1:2], off offset:208
	global_load_dwordx2 v[9:10], v[1:2], off offset:312
	global_load_dwordx2 v[11:12], v[1:2], off offset:416
	global_load_dwordx2 v[13:14], v[1:2], off offset:520
	global_load_dwordx2 v[15:16], v[1:2], off offset:624
	global_load_dwordx2 v[17:18], v[1:2], off offset:728
	global_load_dwordx2 v[19:20], v[1:2], off offset:832
	global_load_dwordx2 v[21:22], v[1:2], off offset:936
	global_load_dwordx2 v[33:34], v[1:2], off offset:1040
	global_load_dwordx2 v[35:36], v[1:2], off offset:1144
	v_add3_u32 v1, 0, v0, v29
	s_waitcnt vmcnt(10)
	ds_write2_b64 v1, v[3:4], v[5:6] offset1:13
	s_waitcnt vmcnt(8)
	ds_write2_b64 v1, v[7:8], v[9:10] offset0:26 offset1:39
	s_waitcnt vmcnt(6)
	ds_write2_b64 v1, v[11:12], v[13:14] offset0:52 offset1:65
	;; [unrolled: 2-line block ×5, first 2 shown]
.LBB0_12:
	s_or_b64 exec, exec, s[4:5]
	v_add3_u32 v25, 0, v29, v0
	s_waitcnt lgkmcnt(0)
	s_barrier
	ds_read2_b64 v[1:4], v25 offset0:13 offset1:26
	ds_read2_b64 v[5:8], v25 offset0:65 offset1:78
	ds_read2_b64 v[9:12], v25 offset0:117 offset1:130
	v_add_u32_e32 v36, 0, v0
	v_add_u32_e32 v35, v36, v29
	s_movk_i32 s0, 0xab
	s_waitcnt lgkmcnt(1)
	v_add_f32_e32 v13, v1, v5
	v_add_f32_e32 v14, v2, v6
	s_waitcnt lgkmcnt(0)
	v_add_f32_e32 v23, v5, v9
	v_sub_f32_e32 v31, v6, v10
	v_add_f32_e32 v37, v6, v10
	v_sub_f32_e32 v38, v5, v9
	v_add_f32_e32 v19, v3, v7
	v_add_f32_e32 v39, v7, v11
	v_sub_f32_e32 v40, v8, v12
	v_add_f32_e32 v20, v4, v8
	;; [unrolled: 3-line block ×3, first 2 shown]
	v_add_f32_e32 v10, v14, v10
	ds_read2_b64 v[5:8], v25 offset0:39 offset1:52
	ds_read_b64 v[17:18], v35
	ds_read2_b64 v[13:16], v25 offset0:91 offset1:104
	v_add_f32_e32 v11, v19, v11
	v_add_f32_e32 v12, v20, v12
	ds_read_b64 v[19:20], v25 offset:1144
	s_waitcnt lgkmcnt(2)
	v_add_f32_e32 v0, v17, v7
	s_waitcnt lgkmcnt(1)
	v_add_f32_e32 v21, v7, v15
	v_fma_f32 v17, -0.5, v21, v17
	v_add_f32_e32 v21, v0, v15
	v_add_f32_e32 v0, v18, v8
	;; [unrolled: 1-line block ×4, first 2 shown]
	v_fmac_f32_e32 v18, -0.5, v0
	v_sub_f32_e32 v0, v8, v16
	v_mov_b32_e32 v33, v17
	v_mov_b32_e32 v34, v18
	v_sub_f32_e32 v7, v7, v15
	v_fmac_f32_e32 v33, 0x3f5db3d7, v0
	v_fmac_f32_e32 v34, 0xbf5db3d7, v7
	v_lshl_add_u32 v8, v24, 4, v25
	v_fmac_f32_e32 v17, 0xbf5db3d7, v0
	v_fmac_f32_e32 v18, 0x3f5db3d7, v7
	v_fma_f32 v0, -0.5, v23, v1
	v_fma_f32 v1, -0.5, v37, v2
	s_waitcnt lgkmcnt(0)
	s_barrier
	ds_write2_b64 v8, v[21:22], v[33:34] offset1:1
	ds_write_b64 v8, v[17:18] offset:16
	v_mov_b32_e32 v7, v0
	v_mov_b32_e32 v8, v1
	v_mad_i32_i24 v15, v30, 24, v36
	v_fmac_f32_e32 v0, 0xbf5db3d7, v31
	v_fmac_f32_e32 v1, 0x3f5db3d7, v38
	v_fma_f32 v3, -0.5, v39, v3
	v_fmac_f32_e32 v4, -0.5, v41
	ds_write_b64 v15, v[0:1] offset:16
	v_mov_b32_e32 v0, v3
	v_mov_b32_e32 v1, v4
	v_fmac_f32_e32 v7, 0x3f5db3d7, v31
	v_fmac_f32_e32 v8, 0xbf5db3d7, v38
	;; [unrolled: 1-line block ×4, first 2 shown]
	v_mad_i32_i24 v22, v32, 24, v36
	v_add_f32_e32 v2, v13, v19
	ds_write2_b64 v15, v[9:10], v[7:8] offset1:1
	ds_write2_b64 v22, v[11:12], v[0:1] offset1:1
	v_add_f32_e32 v0, v5, v13
	v_add_f32_e32 v9, v14, v20
	v_fma_f32 v5, -0.5, v2, v5
	v_sub_f32_e32 v8, v14, v20
	v_add_f32_e32 v1, v6, v14
	v_mov_b32_e32 v7, v5
	v_fmac_f32_e32 v6, -0.5, v9
	v_sub_f32_e32 v10, v13, v19
	v_fmac_f32_e32 v7, 0x3f5db3d7, v8
	v_fmac_f32_e32 v5, 0xbf5db3d7, v8
	v_mov_b32_e32 v8, v6
	v_add_f32_e32 v0, v0, v19
	v_add_f32_e32 v1, v1, v20
	v_fmac_f32_e32 v3, 0xbf5db3d7, v40
	v_fmac_f32_e32 v4, 0x3f5db3d7, v42
	;; [unrolled: 1-line block ×3, first 2 shown]
	v_mad_i32_i24 v12, v28, 24, v36
	v_fmac_f32_e32 v6, 0x3f5db3d7, v10
	ds_write_b64 v22, v[3:4] offset:16
	ds_write2_b64 v12, v[0:1], v[7:8] offset1:1
	ds_write_b64 v12, v[5:6] offset:16
	v_mul_lo_u16_sdwa v0, v24, s0 dst_sel:DWORD dst_unused:UNUSED_PAD src0_sel:BYTE_0 src1_sel:DWORD
	v_lshrrev_b16_e32 v31, 9, v0
	v_mul_lo_u16_e32 v0, 3, v31
	v_sub_u16_e32 v43, v24, v0
	v_mul_lo_u16_e32 v0, 3, v43
	v_mov_b32_e32 v8, 3
	v_lshlrev_b32_sdwa v4, v8, v0 dst_sel:DWORD dst_unused:UNUSED_PAD src0_sel:DWORD src1_sel:BYTE_0
	s_waitcnt lgkmcnt(0)
	s_barrier
	global_load_dwordx4 v[0:3], v4, s[8:9]
	global_load_dwordx2 v[16:17], v4, s[8:9] offset:16
	v_mul_lo_u16_sdwa v4, v32, s0 dst_sel:DWORD dst_unused:UNUSED_PAD src0_sel:BYTE_0 src1_sel:DWORD
	v_lshrrev_b16_e32 v44, 9, v4
	v_mul_lo_u16_e32 v4, 3, v44
	v_sub_u16_e32 v45, v32, v4
	v_mul_u32_u24_sdwa v4, v45, v8 dst_sel:DWORD dst_unused:UNUSED_PAD src0_sel:BYTE_0 src1_sel:DWORD
	v_mul_lo_u16_sdwa v9, v30, s0 dst_sel:DWORD dst_unused:UNUSED_PAD src0_sel:BYTE_0 src1_sel:DWORD
	v_lshlrev_b32_e32 v13, 3, v4
	v_lshrrev_b16_e32 v46, 9, v9
	global_load_dwordx4 v[4:7], v13, s[8:9]
	v_mul_lo_u16_e32 v9, 3, v46
	v_sub_u16_e32 v47, v30, v9
	v_mul_lo_u16_e32 v9, 3, v47
	v_lshlrev_b32_sdwa v14, v8, v9 dst_sel:DWORD dst_unused:UNUSED_PAD src0_sel:DWORD src1_sel:BYTE_0
	global_load_dwordx4 v[8:11], v14, s[8:9]
	global_load_dwordx2 v[18:19], v14, s[8:9] offset:16
	global_load_dwordx2 v[20:21], v13, s[8:9] offset:16
	v_lshlrev_b32_e32 v13, 4, v28
	v_sub_u32_e32 v12, v12, v13
	v_lshlrev_b32_e32 v13, 4, v30
	v_sub_u32_e32 v14, v15, v13
	ds_read_b64 v[12:13], v12
	v_lshlrev_b32_e32 v15, 4, v32
	v_sub_u32_e32 v15, v22, v15
	ds_read_b64 v[22:23], v14
	ds_read_b64 v[37:38], v15
	ds_read_b64 v[33:34], v25 offset:624
	v_cmp_gt_u32_e64 s[0:1], 12, v24
	s_waitcnt vmcnt(5) lgkmcnt(3)
	v_mul_f32_e32 v14, v1, v13
	v_mul_f32_e32 v49, v1, v12
	v_fma_f32 v48, v0, v12, -v14
	v_fmac_f32_e32 v49, v0, v13
	ds_read2_b32 v[39:40], v25 offset0:182 offset1:183
	ds_read2_b64 v[12:15], v25 offset0:104 offset1:117
	ds_read_b64 v[41:42], v35
	s_waitcnt lgkmcnt(3)
	v_mul_f32_e32 v0, v3, v34
	v_fma_f32 v50, v2, v33, -v0
	v_mul_f32_e32 v33, v3, v33
	s_waitcnt vmcnt(4) lgkmcnt(1)
	v_mul_f32_e32 v0, v17, v15
	v_fmac_f32_e32 v33, v2, v34
	v_fma_f32 v34, v16, v14, -v0
	ds_read2_b64 v[0:3], v25 offset0:52 offset1:65
	v_mul_f32_e32 v14, v17, v14
	v_fmac_f32_e32 v14, v16, v15
	s_waitcnt vmcnt(3)
	v_mul_f32_e32 v15, v13, v7
	v_mul_f32_e32 v16, v12, v7
	v_fma_f32 v15, v12, v6, -v15
	v_fmac_f32_e32 v16, v13, v6
	s_waitcnt lgkmcnt(0)
	v_mul_f32_e32 v6, v3, v5
	v_fma_f32 v17, v2, v4, -v6
	v_mul_f32_e32 v51, v2, v5
	s_waitcnt vmcnt(2)
	v_mul_f32_e32 v2, v9, v1
	v_mul_f32_e32 v7, v9, v0
	v_fmac_f32_e32 v51, v3, v4
	v_fma_f32 v6, v8, v0, -v2
	v_fmac_f32_e32 v7, v8, v1
	ds_read2_b64 v[0:3], v25 offset0:130 offset1:143
	v_mul_f32_e32 v4, v40, v11
	v_mul_f32_e32 v9, v11, v39
	v_fma_f32 v8, v10, v39, -v4
	v_sub_f32_e32 v13, v49, v14
	s_waitcnt vmcnt(1) lgkmcnt(0)
	v_mul_f32_e32 v11, v0, v19
	v_mul_f32_e32 v4, v1, v19
	v_fmac_f32_e32 v11, v1, v18
	s_waitcnt vmcnt(0)
	v_mul_f32_e32 v19, v2, v21
	v_sub_f32_e32 v1, v42, v33
	v_fmac_f32_e32 v9, v40, v10
	v_fma_f32 v10, v0, v18, -v4
	v_mul_f32_e32 v0, v3, v21
	v_fmac_f32_e32 v19, v3, v20
	v_fma_f32 v5, v42, 2.0, -v1
	v_fma_f32 v3, v49, 2.0, -v13
	v_fma_f32 v18, v2, v20, -v0
	v_sub_f32_e32 v0, v41, v50
	v_sub_f32_e32 v12, v48, v34
	;; [unrolled: 1-line block ×5, first 2 shown]
	v_fma_f32 v4, v41, 2.0, -v0
	v_fma_f32 v2, v48, 2.0, -v12
	;; [unrolled: 1-line block ×3, first 2 shown]
	v_add_f32_e32 v5, v1, v12
	v_fma_f32 v12, v22, 2.0, -v8
	v_fma_f32 v6, v6, 2.0, -v14
	v_sub_f32_e32 v2, v4, v2
	v_sub_f32_e32 v9, v23, v9
	;; [unrolled: 1-line block ×4, first 2 shown]
	v_fma_f32 v33, v4, 2.0, -v2
	v_sub_f32_e32 v4, v0, v13
	v_fma_f32 v13, v23, 2.0, -v9
	v_fma_f32 v7, v7, 2.0, -v20
	;; [unrolled: 1-line block ×3, first 2 shown]
	v_sub_f32_e32 v12, v8, v20
	v_sub_f32_e32 v22, v37, v15
	v_sub_f32_e32 v20, v51, v19
	v_sub_f32_e32 v11, v13, v7
	v_sub_f32_e32 v23, v38, v16
	v_sub_f32_e32 v16, v17, v18
	v_fma_f32 v19, v51, 2.0, -v20
	v_sub_f32_e32 v20, v22, v20
	v_fma_f32 v7, v13, 2.0, -v11
	v_add_f32_e32 v13, v9, v14
	v_fma_f32 v14, v37, 2.0, -v22
	v_fma_f32 v17, v17, 2.0, -v16
	v_add_f32_e32 v21, v23, v16
	v_fma_f32 v16, v22, 2.0, -v20
	v_mul_lo_u16_e32 v22, 12, v31
	v_or_b32_e32 v22, v22, v43
	v_and_b32_e32 v22, 0xff, v22
	v_fma_f32 v0, v0, 2.0, -v4
	v_fma_f32 v1, v1, 2.0, -v5
	v_lshl_add_u32 v22, v22, 3, v36
	s_barrier
	ds_write2_b64 v22, v[33:34], v[0:1] offset1:3
	ds_write2_b64 v22, v[2:3], v[4:5] offset0:6 offset1:9
	v_mul_lo_u16_e32 v22, 12, v46
	v_or_b32_e32 v22, v22, v47
	v_and_b32_e32 v22, 0xff, v22
	v_fma_f32 v8, v8, 2.0, -v12
	v_fma_f32 v9, v9, 2.0, -v13
	v_lshl_add_u32 v22, v22, 3, v36
	v_fma_f32 v15, v38, 2.0, -v23
	ds_write2_b64 v22, v[6:7], v[8:9] offset1:3
	ds_write2_b64 v22, v[10:11], v[12:13] offset0:6 offset1:9
	v_mul_u32_u24_e32 v22, 12, v44
	v_sub_f32_e32 v18, v14, v17
	v_sub_f32_e32 v19, v15, v19
	v_or_b32_sdwa v22, v22, v45 dst_sel:DWORD dst_unused:UNUSED_PAD src0_sel:DWORD src1_sel:BYTE_0
	v_fma_f32 v14, v14, 2.0, -v18
	v_fma_f32 v15, v15, 2.0, -v19
	;; [unrolled: 1-line block ×3, first 2 shown]
	v_lshl_add_u32 v22, v22, 3, v36
	ds_write2_b64 v22, v[14:15], v[16:17] offset1:3
	ds_write2_b64 v22, v[18:19], v[20:21] offset0:6 offset1:9
	s_waitcnt lgkmcnt(0)
	s_barrier
	s_and_saveexec_b64 s[4:5], s[0:1]
	s_cbranch_execz .LBB0_14
; %bb.13:
	ds_read_b64 v[33:34], v35
	ds_read2_b64 v[0:3], v25 offset0:12 offset1:24
	ds_read2_b64 v[4:7], v25 offset0:36 offset1:48
	;; [unrolled: 1-line block ×6, first 2 shown]
.LBB0_14:
	s_or_b64 exec, exec, s[4:5]
	s_waitcnt lgkmcnt(0)
	s_barrier
	s_and_saveexec_b64 s[4:5], s[0:1]
	s_cbranch_execz .LBB0_16
; %bb.15:
	v_add_u32_e32 v31, -12, v24
	v_cndmask_b32_e64 v31, v31, v24, s[0:1]
	v_mul_i32_i24_e32 v37, 12, v31
	v_mov_b32_e32 v38, 0
	v_lshlrev_b64 v[37:38], 3, v[37:38]
	v_mov_b32_e32 v31, s9
	v_add_co_u32_e64 v37, s[0:1], s8, v37
	v_addc_co_u32_e64 v38, s[0:1], v31, v38, s[0:1]
	global_load_dwordx4 v[44:47], v[37:38], off offset:72
	global_load_dwordx4 v[48:51], v[37:38], off offset:152
	;; [unrolled: 1-line block ×6, first 2 shown]
	s_mov_b32 s11, 0x3df6dbef
	s_mov_b32 s0, 0xbf788fa5
	;; [unrolled: 1-line block ×6, first 2 shown]
	s_waitcnt vmcnt(5)
	v_mul_f32_e32 v38, v0, v45
	s_waitcnt vmcnt(4)
	v_mul_f32_e32 v31, v22, v51
	v_mul_f32_e32 v45, v1, v45
	;; [unrolled: 1-line block ×5, first 2 shown]
	v_fmac_f32_e32 v38, v1, v44
	v_fmac_f32_e32 v31, v23, v50
	v_mul_f32_e32 v51, v23, v51
	s_waitcnt vmcnt(3)
	v_mul_f32_e32 v41, v4, v53
	s_waitcnt vmcnt(2)
	v_mul_f32_e32 v40, v18, v59
	v_mul_f32_e32 v42, v16, v57
	v_fma_f32 v44, v0, v44, -v45
	v_fmac_f32_e32 v39, v3, v46
	v_fma_f32 v45, v2, v46, -v47
	v_fmac_f32_e32 v37, v21, v48
	v_add_f32_e32 v2, v38, v31
	v_mul_f32_e32 v49, v21, v49
	v_mul_f32_e32 v59, v19, v59
	;; [unrolled: 1-line block ×3, first 2 shown]
	v_fma_f32 v23, v22, v50, -v51
	v_fmac_f32_e32 v41, v5, v52
	v_fmac_f32_e32 v40, v19, v58
	;; [unrolled: 1-line block ×3, first 2 shown]
	v_add_f32_e32 v3, v39, v37
	v_mul_f32_e32 v17, 0x3df6dbef, v2
	v_mul_f32_e32 v53, v5, v53
	;; [unrolled: 1-line block ×4, first 2 shown]
	v_fma_f32 v46, v20, v48, -v49
	v_fma_f32 v49, v18, v58, -v59
	v_sub_f32_e32 v21, v44, v23
	v_add_f32_e32 v0, v41, v40
	v_mul_f32_e32 v18, 0xbf788fa5, v3
	v_mov_b32_e32 v5, v17
	s_waitcnt vmcnt(1)
	v_mul_f32_e32 v68, v14, v63
	v_mul_f32_e32 v63, v15, v63
	v_mul_f32_e32 v71, v12, v61
	v_mul_f32_e32 v61, v13, v61
	v_fma_f32 v47, v4, v52, -v53
	v_fma_f32 v48, v6, v54, -v55
	v_sub_f32_e32 v22, v45, v46
	v_sub_f32_e32 v59, v38, v31
	v_mul_f32_e32 v19, 0xbeb58ec6, v0
	v_mov_b32_e32 v6, v18
	v_fmac_f32_e32 v5, 0x3f7e222b, v21
	s_waitcnt vmcnt(0)
	v_mul_f32_e32 v69, v8, v65
	v_mul_f32_e32 v65, v9, v65
	;; [unrolled: 1-line block ×4, first 2 shown]
	v_fmac_f32_e32 v43, v7, v54
	v_fma_f32 v53, v14, v62, -v63
	v_fma_f32 v54, v12, v60, -v61
	v_sub_f32_e32 v55, v47, v49
	v_mul_f32_e32 v61, 0xbf7e222b, v59
	v_mov_b32_e32 v7, v19
	v_fmac_f32_e32 v6, 0x3e750f2a, v22
	v_add_f32_e32 v5, v34, v5
	v_sub_f32_e32 v63, v39, v37
	v_fmac_f32_e32 v69, v9, v64
	v_fma_f32 v51, v8, v64, -v65
	v_fma_f32 v52, v10, v66, -v67
	v_add_f32_e32 v58, v44, v23
	v_mov_b32_e32 v10, v61
	v_fmac_f32_e32 v7, 0xbf6f5d39, v55
	v_add_f32_e32 v5, v6, v5
	v_mul_f32_e32 v64, 0xbe750f2a, v63
	v_fmac_f32_e32 v70, v11, v66
	v_fmac_f32_e32 v68, v15, v62
	v_add_f32_e32 v5, v7, v5
	v_fmac_f32_e32 v10, 0x3df6dbef, v58
	v_add_f32_e32 v62, v45, v46
	v_mov_b32_e32 v7, v64
	v_sub_f32_e32 v66, v41, v40
	v_add_f32_e32 v6, v33, v10
	v_fmac_f32_e32 v7, 0xbf788fa5, v62
	v_mul_f32_e32 v67, 0x3f6f5d39, v66
	v_add_f32_e32 v6, v7, v6
	v_add_f32_e32 v65, v47, v49
	v_mov_b32_e32 v7, v67
	v_sub_f32_e32 v73, v43, v42
	v_fma_f32 v50, v16, v56, -v57
	v_fmac_f32_e32 v7, 0xbeb58ec6, v65
	v_mul_f32_e32 v74, 0x3eedf032, v73
	v_add_f32_e32 v1, v43, v42
	v_add_f32_e32 v6, v7, v6
	;; [unrolled: 1-line block ×3, first 2 shown]
	v_mov_b32_e32 v7, v74
	v_sub_f32_e32 v76, v69, v68
	v_fmac_f32_e32 v71, v13, v60
	v_add_f32_e32 v4, v69, v68
	v_mul_f32_e32 v20, 0x3f62ad3f, v1
	v_fmac_f32_e32 v7, 0x3f62ad3f, v72
	v_mul_f32_e32 v77, 0xbf52af12, v76
	v_sub_f32_e32 v56, v48, v50
	v_mul_f32_e32 v60, 0x3f116cb1, v4
	v_mov_b32_e32 v8, v20
	v_add_f32_e32 v6, v7, v6
	v_add_f32_e32 v75, v51, v53
	v_mov_b32_e32 v7, v77
	v_add_f32_e32 v78, v70, v71
	v_sub_f32_e32 v57, v51, v53
	v_mov_b32_e32 v9, v60
	v_fmac_f32_e32 v8, 0xbeedf032, v56
	v_fmac_f32_e32 v7, 0x3f116cb1, v75
	v_mul_f32_e32 v79, 0xbf3f9e67, v78
	v_fmac_f32_e32 v9, 0x3f52af12, v57
	v_add_f32_e32 v5, v8, v5
	v_add_f32_e32 v7, v7, v6
	v_sub_f32_e32 v80, v52, v54
	v_mov_b32_e32 v6, v79
	v_sub_f32_e32 v82, v70, v71
	v_add_f32_e32 v5, v9, v5
	v_fmac_f32_e32 v6, 0x3f29c268, v80
	v_mul_f32_e32 v83, 0xbf29c268, v82
	v_add_f32_e32 v6, v6, v5
	v_add_f32_e32 v81, v52, v54
	v_mov_b32_e32 v5, v83
	v_fmac_f32_e32 v5, 0xbf3f9e67, v81
	v_mul_f32_e32 v15, 0xbeb58ec6, v2
	v_add_f32_e32 v5, v5, v7
	v_mov_b32_e32 v7, v15
	v_mul_f32_e32 v16, 0xbf3f9e67, v3
	v_fmac_f32_e32 v7, 0x3f6f5d39, v21
	v_mov_b32_e32 v8, v16
	v_add_f32_e32 v7, v34, v7
	v_fmac_f32_e32 v8, 0xbf29c268, v22
	v_mul_f32_e32 v84, 0x3f62ad3f, v0
	v_add_f32_e32 v7, v8, v7
	v_mov_b32_e32 v8, v84
	v_fmac_f32_e32 v8, 0xbeedf032, v55
	v_mul_f32_e32 v85, 0x3df6dbef, v1
	v_add_f32_e32 v7, v8, v7
	v_mov_b32_e32 v8, v85
	;; [unrolled: 4-line block ×4, first 2 shown]
	v_mul_f32_e32 v88, 0x3f29c268, v63
	v_fmac_f32_e32 v8, 0xbeb58ec6, v58
	v_mov_b32_e32 v9, v88
	v_add_f32_e32 v8, v33, v8
	v_fmac_f32_e32 v9, 0xbf3f9e67, v62
	v_mul_f32_e32 v89, 0x3eedf032, v66
	v_add_f32_e32 v8, v9, v8
	v_mov_b32_e32 v9, v89
	v_fmac_f32_e32 v9, 0x3f62ad3f, v65
	v_mul_f32_e32 v90, 0xbf7e222b, v73
	v_add_f32_e32 v8, v9, v8
	v_mov_b32_e32 v9, v90
	;; [unrolled: 4-line block ×6, first 2 shown]
	v_mul_f32_e32 v14, 0x3df6dbef, v3
	v_fmac_f32_e32 v9, 0x3f29c268, v21
	v_mov_b32_e32 v10, v14
	v_add_f32_e32 v9, v34, v9
	v_fmac_f32_e32 v10, 0xbf7e222b, v22
	v_mul_f32_e32 v94, 0x3f116cb1, v0
	v_add_f32_e32 v9, v10, v9
	v_mov_b32_e32 v10, v94
	v_fmac_f32_e32 v10, 0x3f52af12, v55
	v_mul_f32_e32 v95, 0xbf788fa5, v1
	v_add_f32_e32 v9, v10, v9
	v_mov_b32_e32 v10, v95
	v_fmac_f32_e32 v10, 0xbe750f2a, v56
	v_mul_f32_e32 v96, 0x3f62ad3f, v4
	v_fmac_f32_e32 v17, 0xbf7e222b, v21
	v_add_f32_e32 v9, v10, v9
	v_mov_b32_e32 v10, v96
	v_add_f32_e32 v17, v34, v17
	v_fmac_f32_e32 v18, 0xbe750f2a, v22
	v_fmac_f32_e32 v10, 0xbeedf032, v57
	v_mul_f32_e32 v97, 0xbf29c268, v59
	v_add_f32_e32 v17, v18, v17
	v_fmac_f32_e32 v19, 0x3f6f5d39, v55
	v_fma_f32 v18, v58, s11, -v61
	v_add_f32_e32 v9, v10, v9
	v_mov_b32_e32 v10, v97
	v_mul_f32_e32 v98, 0x3f7e222b, v63
	v_add_f32_e32 v17, v19, v17
	v_add_f32_e32 v18, v33, v18
	v_fma_f32 v19, v62, s0, -v64
	v_fmac_f32_e32 v10, 0xbf3f9e67, v58
	v_mov_b32_e32 v11, v98
	v_fmac_f32_e32 v20, 0x3eedf032, v56
	v_add_f32_e32 v18, v19, v18
	v_fma_f32 v19, v65, s7, -v67
	v_add_f32_e32 v10, v33, v10
	v_fmac_f32_e32 v11, 0x3df6dbef, v62
	v_mul_f32_e32 v99, 0xbf52af12, v66
	v_add_f32_e32 v17, v20, v17
	v_fmac_f32_e32 v60, 0xbf52af12, v57
	v_add_f32_e32 v18, v19, v18
	v_fma_f32 v19, v72, s1, -v74
	v_add_f32_e32 v38, v34, v38
	v_add_f32_e32 v10, v11, v10
	v_mov_b32_e32 v11, v99
	v_add_f32_e32 v17, v60, v17
	v_add_f32_e32 v18, v19, v18
	v_fma_f32 v19, v75, s10, -v77
	v_fmac_f32_e32 v79, 0xbf29c268, v80
	v_add_f32_e32 v38, v38, v39
	v_fmac_f32_e32 v11, 0x3f116cb1, v65
	v_mul_f32_e32 v100, 0x3e750f2a, v73
	v_add_f32_e32 v19, v19, v18
	v_add_f32_e32 v18, v79, v17
	v_fma_f32 v17, v81, s6, -v83
	v_mul_f32_e32 v60, 0xbf52af12, v21
	v_add_f32_e32 v38, v38, v41
	v_add_f32_e32 v10, v11, v10
	v_mov_b32_e32 v11, v100
	v_add_f32_e32 v17, v17, v19
	v_mov_b32_e32 v19, v60
	v_mul_f32_e32 v61, 0xbf6f5d39, v22
	v_add_f32_e32 v38, v38, v43
	v_fmac_f32_e32 v11, 0xbf788fa5, v72
	v_mul_f32_e32 v101, 0x3eedf032, v76
	v_fmac_f32_e32 v19, 0x3f116cb1, v2
	v_mov_b32_e32 v20, v61
	v_add_f32_e32 v38, v38, v69
	v_add_f32_e32 v10, v11, v10
	v_mov_b32_e32 v11, v101
	v_add_f32_e32 v19, v34, v19
	v_fmac_f32_e32 v20, 0xbeb58ec6, v3
	v_mul_f32_e32 v64, 0xbe750f2a, v55
	v_add_f32_e32 v38, v38, v70
	v_fmac_f32_e32 v11, 0x3f62ad3f, v75
	v_mul_f32_e32 v102, 0xbeb58ec6, v78
	v_add_f32_e32 v19, v20, v19
	v_mov_b32_e32 v20, v64
	v_add_f32_e32 v38, v38, v71
	v_add_f32_e32 v11, v11, v10
	v_mov_b32_e32 v10, v102
	v_fmac_f32_e32 v15, 0xbf6f5d39, v21
	v_fmac_f32_e32 v20, 0xbf788fa5, v0
	v_mul_f32_e32 v67, 0x3f29c268, v56
	v_add_f32_e32 v38, v38, v68
	v_fmac_f32_e32 v10, 0x3f6f5d39, v80
	v_mul_f32_e32 v103, 0xbf6f5d39, v82
	v_add_f32_e32 v15, v34, v15
	v_fmac_f32_e32 v16, 0x3f29c268, v22
	v_add_f32_e32 v19, v20, v19
	v_mov_b32_e32 v20, v67
	v_add_f32_e32 v38, v38, v42
	v_add_f32_e32 v10, v10, v9
	v_mov_b32_e32 v9, v103
	v_add_f32_e32 v15, v16, v15
	v_fmac_f32_e32 v84, 0x3eedf032, v55
	v_fma_f32 v16, v58, s7, -v87
	v_fmac_f32_e32 v20, 0xbf3f9e67, v1
	v_mul_f32_e32 v74, 0x3f7e222b, v57
	v_add_f32_e32 v38, v38, v40
	v_fmac_f32_e32 v9, 0xbeb58ec6, v81
	v_mul_f32_e32 v104, 0xbe750f2a, v21
	v_add_f32_e32 v15, v84, v15
	v_add_f32_e32 v16, v33, v16
	v_fma_f32 v84, v62, s6, -v88
	v_add_f32_e32 v19, v20, v19
	v_mov_b32_e32 v20, v74
	v_add_f32_e32 v37, v38, v37
	v_add_f32_e32 v38, v33, v44
	;; [unrolled: 1-line block ×3, first 2 shown]
	v_mov_b32_e32 v11, v104
	v_mul_f32_e32 v105, 0x3eedf032, v22
	v_fmac_f32_e32 v85, 0xbf7e222b, v56
	v_add_f32_e32 v16, v84, v16
	v_fma_f32 v84, v65, s1, -v89
	v_fmac_f32_e32 v20, 0x3df6dbef, v4
	v_mul_f32_e32 v77, 0xbf52af12, v59
	v_add_f32_e32 v38, v38, v45
	v_fmac_f32_e32 v11, 0xbf788fa5, v2
	v_mov_b32_e32 v12, v105
	v_add_f32_e32 v15, v85, v15
	v_fmac_f32_e32 v86, 0x3e750f2a, v57
	v_add_f32_e32 v16, v84, v16
	v_fma_f32 v84, v72, s11, -v90
	v_add_f32_e32 v19, v20, v19
	v_fma_f32 v20, v58, s10, -v77
	v_mul_f32_e32 v79, 0xbf6f5d39, v63
	v_add_f32_e32 v38, v38, v47
	v_add_f32_e32 v11, v34, v11
	v_fmac_f32_e32 v12, 0x3f62ad3f, v3
	v_mul_f32_e32 v106, 0xbf29c268, v55
	v_add_f32_e32 v15, v86, v15
	v_add_f32_e32 v16, v84, v16
	v_fma_f32 v84, v75, s0, -v91
	v_fmac_f32_e32 v92, 0x3f52af12, v80
	v_add_f32_e32 v20, v33, v20
	v_fma_f32 v83, v62, s7, -v79
	v_add_f32_e32 v38, v38, v48
	v_add_f32_e32 v11, v12, v11
	v_mov_b32_e32 v12, v106
	v_add_f32_e32 v84, v84, v16
	v_add_f32_e32 v16, v92, v15
	v_fma_f32 v15, v81, s10, -v93
	v_add_f32_e32 v20, v83, v20
	v_mul_f32_e32 v83, 0xbe750f2a, v66
	v_add_f32_e32 v38, v38, v51
	v_fmac_f32_e32 v12, 0xbf3f9e67, v0
	v_mul_f32_e32 v107, 0x3f52af12, v56
	v_add_f32_e32 v15, v15, v84
	v_fma_f32 v84, v65, s0, -v83
	v_add_f32_e32 v38, v38, v52
	v_add_f32_e32 v11, v12, v11
	v_mov_b32_e32 v12, v107
	v_add_f32_e32 v20, v84, v20
	v_mul_f32_e32 v84, 0x3f29c268, v73
	v_add_f32_e32 v38, v38, v54
	v_fmac_f32_e32 v12, 0x3f116cb1, v1
	v_mul_f32_e32 v108, 0xbf6f5d39, v57
	v_fma_f32 v85, v72, s6, -v84
	v_add_f32_e32 v38, v38, v53
	v_add_f32_e32 v11, v12, v11
	v_mov_b32_e32 v12, v108
	v_add_f32_e32 v20, v85, v20
	v_mul_f32_e32 v85, 0x3f7e222b, v76
	v_add_f32_e32 v38, v38, v50
	v_fmac_f32_e32 v12, 0xbeb58ec6, v4
	v_mul_f32_e32 v109, 0xbe750f2a, v59
	v_fma_f32 v86, v75, s11, -v85
	v_mul_f32_e32 v87, 0x3eedf032, v80
	v_add_f32_e32 v38, v38, v49
	v_add_f32_e32 v11, v12, v11
	v_fma_f32 v12, v58, s0, -v109
	v_mul_f32_e32 v110, 0x3eedf032, v63
	v_add_f32_e32 v86, v86, v20
	v_mov_b32_e32 v20, v87
	v_add_f32_e32 v39, v38, v46
	v_add_f32_e32 v12, v33, v12
	v_fma_f32 v111, v62, s1, -v110
	v_fmac_f32_e32 v20, 0x3f62ad3f, v78
	v_mul_f32_e32 v88, 0x3eedf032, v82
	v_add_f32_e32 v38, v37, v31
	v_add_f32_e32 v37, v39, v23
	v_fma_f32 v23, v2, s0, -v104
	v_add_f32_e32 v12, v111, v12
	v_mul_f32_e32 v111, 0xbf29c268, v66
	v_add_f32_e32 v20, v20, v19
	v_fma_f32 v19, v81, s1, -v88
	v_add_f32_e32 v23, v34, v23
	v_fma_f32 v31, v3, s1, -v105
	v_fma_f32 v112, v65, s6, -v111
	v_add_f32_e32 v19, v19, v86
	v_mul_f32_e32 v86, 0xbeedf032, v21
	v_add_f32_e32 v23, v31, v23
	v_fma_f32 v31, v0, s6, -v106
	v_add_f32_e32 v12, v112, v12
	v_mul_f32_e32 v112, 0x3f52af12, v73
	v_fmac_f32_e32 v13, 0xbf29c268, v21
	v_mov_b32_e32 v21, v86
	v_mul_f32_e32 v89, 0xbf52af12, v22
	v_add_f32_e32 v23, v31, v23
	v_fma_f32 v31, v1, s10, -v107
	v_fma_f32 v113, v72, s10, -v112
	v_fmac_f32_e32 v14, 0x3f7e222b, v22
	v_fmac_f32_e32 v21, 0x3f62ad3f, v2
	v_mov_b32_e32 v22, v89
	v_add_f32_e32 v23, v31, v23
	v_fma_f32 v31, v4, s7, -v108
	v_fmac_f32_e32 v109, 0xbf788fa5, v58
	v_add_f32_e32 v12, v113, v12
	v_mul_f32_e32 v113, 0xbf6f5d39, v76
	v_fmac_f32_e32 v94, 0xbf52af12, v55
	v_add_f32_e32 v21, v34, v21
	v_fmac_f32_e32 v22, 0x3f116cb1, v3
	v_mul_f32_e32 v55, 0xbf7e222b, v55
	v_add_f32_e32 v23, v31, v23
	v_add_f32_e32 v31, v33, v109
	v_fmac_f32_e32 v110, 0x3f62ad3f, v62
	v_fma_f32 v114, v75, s7, -v113
	v_mul_f32_e32 v115, 0x3f7e222b, v80
	v_add_f32_e32 v21, v22, v21
	v_mov_b32_e32 v22, v55
	v_add_f32_e32 v31, v110, v31
	v_fmac_f32_e32 v111, 0xbf3f9e67, v65
	v_add_f32_e32 v114, v114, v12
	v_mov_b32_e32 v12, v115
	v_fmac_f32_e32 v95, 0x3e750f2a, v56
	v_fmac_f32_e32 v22, 0x3df6dbef, v0
	v_mul_f32_e32 v56, 0xbf6f5d39, v56
	v_add_f32_e32 v31, v111, v31
	v_fmac_f32_e32 v112, 0x3f116cb1, v72
	v_fmac_f32_e32 v12, 0x3df6dbef, v78
	v_mul_f32_e32 v116, 0x3f7e222b, v82
	v_add_f32_e32 v21, v22, v21
	v_mov_b32_e32 v22, v56
	v_add_f32_e32 v31, v112, v31
	v_fmac_f32_e32 v113, 0xbeb58ec6, v75
	v_fma_f32 v39, v78, s11, -v115
	v_add_f32_e32 v12, v12, v11
	v_fma_f32 v11, v81, s11, -v116
	v_fmac_f32_e32 v96, 0x3eedf032, v57
	v_fmac_f32_e32 v22, 0xbeb58ec6, v1
	v_mul_f32_e32 v57, 0xbf29c268, v57
	v_add_f32_e32 v31, v113, v31
	v_add_f32_e32 v40, v39, v23
	v_fmac_f32_e32 v116, 0x3df6dbef, v81
	v_fma_f32 v23, v2, s10, -v60
	v_fma_f32 v2, v2, s1, -v86
	v_add_f32_e32 v21, v22, v21
	v_mov_b32_e32 v22, v57
	v_add_f32_e32 v39, v116, v31
	v_add_f32_e32 v23, v34, v23
	v_fma_f32 v31, v3, s7, -v61
	v_fma_f32 v3, v3, s10, -v89
	v_add_f32_e32 v2, v34, v2
	v_fmac_f32_e32 v22, 0xbf3f9e67, v4
	v_mul_f32_e32 v59, 0xbeedf032, v59
	v_add_f32_e32 v23, v31, v23
	v_fma_f32 v31, v0, s0, -v64
	v_add_f32_e32 v2, v3, v2
	v_fma_f32 v0, v0, s11, -v55
	;; [unrolled: 2-line block ×3, first 2 shown]
	v_mul_f32_e32 v63, 0xbf52af12, v63
	v_add_f32_e32 v23, v31, v23
	v_fma_f32 v31, v1, s6, -v67
	v_add_f32_e32 v0, v0, v2
	v_fma_f32 v1, v1, s7, -v56
	v_add_f32_e32 v13, v34, v13
	v_fmac_f32_e32 v102, 0xbf6f5d39, v80
	v_add_f32_e32 v22, v33, v22
	v_fma_f32 v90, v62, s10, -v63
	v_mul_f32_e32 v66, 0xbf7e222b, v66
	v_mul_f32_e32 v80, 0xbe750f2a, v80
	v_add_f32_e32 v0, v1, v0
	v_fma_f32 v1, v4, s6, -v57
	v_add_f32_e32 v13, v14, v13
	v_fma_f32 v14, v58, s6, -v97
	;; [unrolled: 2-line block ×3, first 2 shown]
	v_mul_f32_e32 v73, 0xbf6f5d39, v73
	v_add_f32_e32 v23, v31, v23
	v_fma_f32 v31, v4, s11, -v74
	v_fmac_f32_e32 v77, 0x3f116cb1, v58
	v_add_f32_e32 v0, v1, v0
	v_fma_f32 v1, v78, s0, -v80
	v_fmac_f32_e32 v59, 0x3f62ad3f, v58
	v_add_f32_e32 v13, v94, v13
	v_add_f32_e32 v14, v33, v14
	v_fma_f32 v94, v62, s11, -v98
	v_add_f32_e32 v22, v90, v22
	v_fma_f32 v90, v72, s7, -v73
	v_mul_f32_e32 v76, 0xbf29c268, v76
	v_add_f32_e32 v23, v31, v23
	v_add_f32_e32 v31, v33, v77
	v_fmac_f32_e32 v79, 0xbeb58ec6, v62
	v_add_f32_e32 v1, v1, v0
	v_add_f32_e32 v0, v33, v59
	v_fmac_f32_e32 v63, 0x3f116cb1, v62
	v_add_f32_e32 v14, v94, v14
	v_fma_f32 v94, v65, s10, -v99
	v_add_f32_e32 v22, v90, v22
	v_fma_f32 v90, v75, s6, -v76
	v_add_f32_e32 v31, v79, v31
	v_fmac_f32_e32 v83, 0xbf788fa5, v65
	v_add_f32_e32 v0, v63, v0
	v_fmac_f32_e32 v66, 0x3df6dbef, v65
	v_add_f32_e32 v13, v95, v13
	v_add_f32_e32 v14, v94, v14
	v_fma_f32 v94, v72, s0, -v100
	v_add_f32_e32 v90, v90, v22
	v_mov_b32_e32 v22, v80
	v_add_f32_e32 v31, v83, v31
	v_fmac_f32_e32 v84, 0xbf3f9e67, v72
	v_add_f32_e32 v0, v66, v0
	v_fmac_f32_e32 v73, 0xbeb58ec6, v72
	v_add_f32_e32 v13, v96, v13
	v_add_f32_e32 v14, v94, v14
	v_fma_f32 v94, v75, s1, -v101
	v_fmac_f32_e32 v22, 0xbf788fa5, v78
	v_mul_f32_e32 v82, 0xbe750f2a, v82
	v_add_f32_e32 v31, v84, v31
	v_fmac_f32_e32 v85, 0x3df6dbef, v75
	v_add_f32_e32 v0, v73, v0
	v_fmac_f32_e32 v76, 0xbf3f9e67, v75
	v_add_f32_e32 v94, v94, v14
	v_add_f32_e32 v14, v102, v13
	v_fma_f32 v13, v81, s7, -v103
	v_add_f32_e32 v22, v22, v21
	v_fma_f32 v21, v81, s0, -v82
	;; [unrolled: 2-line block ×3, first 2 shown]
	v_fmac_f32_e32 v88, 0x3f62ad3f, v81
	v_add_f32_e32 v0, v76, v0
	v_fmac_f32_e32 v82, 0xbf788fa5, v81
	v_add_f32_e32 v11, v11, v114
	v_add_f32_e32 v13, v13, v94
	;; [unrolled: 1-line block ×6, first 2 shown]
	ds_write_b64 v35, v[37:38]
	ds_write2_b64 v25, v[21:22], v[19:20] offset0:12 offset1:24
	ds_write2_b64 v25, v[17:18], v[15:16] offset0:36 offset1:48
	;; [unrolled: 1-line block ×6, first 2 shown]
.LBB0_16:
	s_or_b64 exec, exec, s[4:5]
	s_waitcnt lgkmcnt(0)
	s_barrier
	ds_read_b64 v[4:5], v35
	v_sub_u32_e32 v6, v36, v29
	v_cmp_ne_u32_e64 s[0:1], 0, v24
                                        ; implicit-def: $vgpr2
                                        ; implicit-def: $vgpr7
                                        ; implicit-def: $vgpr8
                                        ; implicit-def: $vgpr0_vgpr1
	s_and_saveexec_b64 s[4:5], s[0:1]
	s_xor_b64 s[4:5], exec, s[4:5]
	s_cbranch_execz .LBB0_18
; %bb.17:
	v_mov_b32_e32 v25, 0
	v_lshlrev_b64 v[0:1], 3, v[24:25]
	v_mov_b32_e32 v2, s9
	v_add_co_u32_e64 v0, s[0:1], s8, v0
	v_addc_co_u32_e64 v1, s[0:1], v2, v1, s[0:1]
	global_load_dwordx2 v[0:1], v[0:1], off offset:1224
	ds_read_b64 v[2:3], v6 offset:1248
	s_waitcnt lgkmcnt(0)
	v_add_f32_e32 v9, v2, v4
	v_sub_f32_e32 v2, v4, v2
	v_add_f32_e32 v7, v3, v5
	v_sub_f32_e32 v3, v5, v3
	v_mul_f32_e32 v2, 0.5, v2
	v_mul_f32_e32 v4, 0.5, v7
	;; [unrolled: 1-line block ×3, first 2 shown]
	s_waitcnt vmcnt(0)
	v_mul_f32_e32 v5, v1, v2
	v_fma_f32 v8, v4, v1, v3
	v_fma_f32 v1, v4, v1, -v3
	v_fma_f32 v7, 0.5, v9, v5
	v_fma_f32 v5, v9, 0.5, -v5
	v_fma_f32 v8, -v0, v2, v8
	v_fma_f32 v3, -v0, v2, v1
	v_fmac_f32_e32 v7, v0, v4
	v_fma_f32 v2, -v0, v4, v5
	v_mov_b32_e32 v0, v24
	v_mov_b32_e32 v1, v25
                                        ; implicit-def: $vgpr4_vgpr5
.LBB0_18:
	s_andn2_saveexec_b64 s[0:1], s[4:5]
	s_cbranch_execz .LBB0_20
; %bb.19:
	ds_read_b32 v3, v36 offset:628
	v_mov_b32_e32 v0, 0
	s_waitcnt lgkmcnt(1)
	v_add_f32_e32 v7, v4, v5
	v_sub_f32_e32 v2, v4, v5
	v_mov_b32_e32 v1, 0
	s_waitcnt lgkmcnt(0)
	v_xor_b32_e32 v3, 0x80000000, v3
	v_mov_b32_e32 v8, 0
	ds_write_b32 v36, v3 offset:628
	v_mov_b32_e32 v3, 0
.LBB0_20:
	s_or_b64 exec, exec, s[0:1]
	v_mov_b32_e32 v31, 0
	s_waitcnt lgkmcnt(0)
	v_lshlrev_b64 v[4:5], 3, v[30:31]
	v_mov_b32_e32 v9, s9
	v_add_co_u32_e64 v4, s[0:1], s8, v4
	v_addc_co_u32_e64 v5, s[0:1], v9, v5, s[0:1]
	global_load_dwordx2 v[4:5], v[4:5], off offset:1224
	v_mov_b32_e32 v33, v31
	v_lshlrev_b64 v[9:10], 3, v[32:33]
	v_mov_b32_e32 v11, s9
	v_add_co_u32_e64 v9, s[0:1], s8, v9
	v_addc_co_u32_e64 v10, s[0:1], v11, v10, s[0:1]
	global_load_dwordx2 v[9:10], v[9:10], off offset:1224
	v_mov_b32_e32 v29, v31
	v_lshlrev_b64 v[11:12], 3, v[28:29]
	v_mov_b32_e32 v13, s9
	v_add_co_u32_e64 v11, s[0:1], s8, v11
	v_addc_co_u32_e64 v12, s[0:1], v13, v12, s[0:1]
	global_load_dwordx2 v[11:12], v[11:12], off offset:1224
	s_add_u32 s0, s8, 0x4c8
	v_lshlrev_b64 v[0:1], 3, v[0:1]
	s_addc_u32 s1, s9, 0
	v_mov_b32_e32 v14, s1
	v_add_co_u32_e64 v13, s[0:1], s0, v0
	ds_write2_b32 v35, v7, v8 offset1:1
	ds_write_b64 v6, v[2:3] offset:1248
	v_lshl_add_u32 v17, v30, 3, v36
	v_addc_co_u32_e64 v14, s[0:1], v14, v1, s[0:1]
	ds_read_b64 v[2:3], v17
	ds_read_b64 v[7:8], v6 offset:1144
	global_load_dwordx2 v[15:16], v[13:14], off offset:416
	v_lshl_add_u32 v18, v32, 3, v36
	s_waitcnt lgkmcnt(0)
	v_add_f32_e32 v19, v2, v7
	v_sub_f32_e32 v2, v2, v7
	v_add_f32_e32 v20, v3, v8
	v_sub_f32_e32 v3, v3, v8
	v_mul_f32_e32 v2, 0.5, v2
	v_mul_f32_e32 v7, 0.5, v20
	;; [unrolled: 1-line block ×3, first 2 shown]
	s_waitcnt vmcnt(3)
	v_mul_f32_e32 v8, v5, v2
	v_fma_f32 v20, v7, v5, v3
	v_fma_f32 v3, v7, v5, -v3
	v_fma_f32 v5, 0.5, v19, v8
	v_fma_f32 v20, -v4, v2, v20
	v_fma_f32 v8, v19, 0.5, -v8
	v_fmac_f32_e32 v5, v4, v7
	v_fma_f32 v3, -v4, v2, v3
	v_fma_f32 v2, -v4, v7, v8
	ds_write2_b32 v17, v5, v20 offset1:1
	ds_write_b64 v6, v[2:3] offset:1144
	ds_read_b64 v[2:3], v18
	ds_read_b64 v[4:5], v6 offset:1040
	global_load_dwordx2 v[7:8], v[13:14], off offset:520
	v_lshl_add_u32 v17, v28, 3, v36
	s_waitcnt lgkmcnt(0)
	v_add_f32_e32 v13, v2, v4
	v_sub_f32_e32 v2, v2, v4
	v_add_f32_e32 v14, v3, v5
	v_sub_f32_e32 v3, v3, v5
	v_mul_f32_e32 v2, 0.5, v2
	v_mul_f32_e32 v4, 0.5, v14
	;; [unrolled: 1-line block ×3, first 2 shown]
	s_waitcnt vmcnt(3)
	v_mul_f32_e32 v5, v10, v2
	v_fma_f32 v14, v4, v10, v3
	v_fma_f32 v3, v4, v10, -v3
	v_fma_f32 v10, 0.5, v13, v5
	v_fma_f32 v14, -v9, v2, v14
	v_fma_f32 v5, v13, 0.5, -v5
	v_fmac_f32_e32 v10, v9, v4
	v_fma_f32 v3, -v9, v2, v3
	v_fma_f32 v2, -v9, v4, v5
	ds_write2_b32 v18, v10, v14 offset1:1
	ds_write_b64 v6, v[2:3] offset:1040
	ds_read_b64 v[2:3], v17
	ds_read_b64 v[4:5], v6 offset:936
	s_waitcnt lgkmcnt(0)
	v_add_f32_e32 v9, v2, v4
	v_sub_f32_e32 v2, v2, v4
	v_add_f32_e32 v10, v3, v5
	v_sub_f32_e32 v3, v3, v5
	v_mul_f32_e32 v2, 0.5, v2
	v_mul_f32_e32 v4, 0.5, v10
	;; [unrolled: 1-line block ×3, first 2 shown]
	s_waitcnt vmcnt(2)
	v_mul_f32_e32 v5, v12, v2
	v_fma_f32 v10, v4, v12, v3
	v_fma_f32 v3, v4, v12, -v3
	v_fma_f32 v12, 0.5, v9, v5
	v_fma_f32 v10, -v11, v2, v10
	v_fma_f32 v5, v9, 0.5, -v5
	v_fmac_f32_e32 v12, v11, v4
	v_fma_f32 v3, -v11, v2, v3
	v_fma_f32 v2, -v11, v4, v5
	ds_write2_b32 v17, v12, v10 offset1:1
	ds_write_b64 v6, v[2:3] offset:936
	ds_read_b64 v[2:3], v35 offset:416
	ds_read_b64 v[4:5], v6 offset:832
	s_waitcnt lgkmcnt(0)
	v_add_f32_e32 v9, v2, v4
	v_sub_f32_e32 v2, v2, v4
	v_add_f32_e32 v10, v3, v5
	v_sub_f32_e32 v3, v3, v5
	v_mul_f32_e32 v2, 0.5, v2
	v_mul_f32_e32 v4, 0.5, v10
	;; [unrolled: 1-line block ×3, first 2 shown]
	s_waitcnt vmcnt(1)
	v_mul_f32_e32 v5, v16, v2
	v_fma_f32 v10, v4, v16, v3
	v_fma_f32 v11, 0.5, v9, v5
	v_fma_f32 v3, v4, v16, -v3
	v_fma_f32 v10, -v15, v2, v10
	v_fma_f32 v5, v9, 0.5, -v5
	v_fmac_f32_e32 v11, v15, v4
	v_fma_f32 v3, -v15, v2, v3
	v_fma_f32 v2, -v15, v4, v5
	ds_write2_b32 v35, v11, v10 offset0:104 offset1:105
	ds_write_b64 v6, v[2:3] offset:832
	ds_read_b64 v[2:3], v35 offset:520
	ds_read_b64 v[4:5], v6 offset:728
	s_waitcnt lgkmcnt(0)
	v_add_f32_e32 v9, v2, v4
	v_sub_f32_e32 v2, v2, v4
	v_add_f32_e32 v10, v3, v5
	v_sub_f32_e32 v3, v3, v5
	v_mul_f32_e32 v5, 0.5, v2
	v_mul_f32_e32 v4, 0.5, v10
	;; [unrolled: 1-line block ×3, first 2 shown]
	s_waitcnt vmcnt(0)
	v_mul_f32_e32 v2, v8, v5
	v_fma_f32 v10, 0.5, v9, v2
	v_fma_f32 v11, v4, v8, v3
	v_fmac_f32_e32 v10, v7, v4
	v_fma_f32 v11, -v7, v5, v11
	v_fma_f32 v2, v9, 0.5, -v2
	v_fma_f32 v3, v4, v8, -v3
	v_fma_f32 v2, -v7, v4, v2
	v_fma_f32 v3, -v7, v5, v3
	ds_write2_b32 v35, v10, v11 offset0:130 offset1:131
	ds_write_b64 v6, v[2:3] offset:728
	s_waitcnt lgkmcnt(0)
	s_barrier
	s_and_saveexec_b64 s[0:1], vcc
	s_cbranch_execz .LBB0_23
; %bb.21:
	ds_read2_b64 v[4:7], v35 offset1:13
	v_mov_b32_e32 v3, s3
	v_add_co_u32_e32 v2, vcc, s2, v26
	ds_read2_b64 v[8:11], v35 offset0:26 offset1:39
	v_addc_co_u32_e32 v3, vcc, v3, v27, vcc
	v_add_co_u32_e32 v0, vcc, v2, v0
	v_addc_co_u32_e32 v1, vcc, v3, v1, vcc
	s_waitcnt lgkmcnt(1)
	global_store_dwordx2 v[0:1], v[4:5], off
	ds_read2_b64 v[12:15], v35 offset0:52 offset1:65
	global_store_dwordx2 v[0:1], v[6:7], off offset:104
	s_waitcnt lgkmcnt(1)
	global_store_dwordx2 v[0:1], v[8:9], off offset:208
	global_store_dwordx2 v[0:1], v[10:11], off offset:312
	ds_read2_b64 v[4:7], v35 offset0:78 offset1:91
	ds_read2_b64 v[8:11], v35 offset0:104 offset1:117
	v_cmp_eq_u32_e32 vcc, 12, v24
	s_waitcnt lgkmcnt(2)
	global_store_dwordx2 v[0:1], v[12:13], off offset:416
	global_store_dwordx2 v[0:1], v[14:15], off offset:520
	ds_read2_b64 v[12:15], v35 offset0:130 offset1:143
	s_waitcnt lgkmcnt(2)
	global_store_dwordx2 v[0:1], v[4:5], off offset:624
	global_store_dwordx2 v[0:1], v[6:7], off offset:728
	s_waitcnt lgkmcnt(1)
	global_store_dwordx2 v[0:1], v[8:9], off offset:832
	global_store_dwordx2 v[0:1], v[10:11], off offset:936
	;; [unrolled: 3-line block ×3, first 2 shown]
	s_and_b64 exec, exec, vcc
	s_cbranch_execz .LBB0_23
; %bb.22:
	ds_read_b64 v[0:1], v35 offset:1152
	s_waitcnt lgkmcnt(0)
	global_store_dwordx2 v[2:3], v[0:1], off offset:1248
.LBB0_23:
	s_endpgm
	.section	.rodata,"a",@progbits
	.p2align	6, 0x0
	.amdhsa_kernel fft_rtc_fwd_len156_factors_3_4_13_wgs_117_tpt_13_sp_ip_CI_unitstride_sbrr_R2C_dirReg
		.amdhsa_group_segment_fixed_size 0
		.amdhsa_private_segment_fixed_size 0
		.amdhsa_kernarg_size 88
		.amdhsa_user_sgpr_count 6
		.amdhsa_user_sgpr_private_segment_buffer 1
		.amdhsa_user_sgpr_dispatch_ptr 0
		.amdhsa_user_sgpr_queue_ptr 0
		.amdhsa_user_sgpr_kernarg_segment_ptr 1
		.amdhsa_user_sgpr_dispatch_id 0
		.amdhsa_user_sgpr_flat_scratch_init 0
		.amdhsa_user_sgpr_private_segment_size 0
		.amdhsa_uses_dynamic_stack 0
		.amdhsa_system_sgpr_private_segment_wavefront_offset 0
		.amdhsa_system_sgpr_workgroup_id_x 1
		.amdhsa_system_sgpr_workgroup_id_y 0
		.amdhsa_system_sgpr_workgroup_id_z 0
		.amdhsa_system_sgpr_workgroup_info 0
		.amdhsa_system_vgpr_workitem_id 0
		.amdhsa_next_free_vgpr 117
		.amdhsa_next_free_sgpr 22
		.amdhsa_reserve_vcc 1
		.amdhsa_reserve_flat_scratch 0
		.amdhsa_float_round_mode_32 0
		.amdhsa_float_round_mode_16_64 0
		.amdhsa_float_denorm_mode_32 3
		.amdhsa_float_denorm_mode_16_64 3
		.amdhsa_dx10_clamp 1
		.amdhsa_ieee_mode 1
		.amdhsa_fp16_overflow 0
		.amdhsa_exception_fp_ieee_invalid_op 0
		.amdhsa_exception_fp_denorm_src 0
		.amdhsa_exception_fp_ieee_div_zero 0
		.amdhsa_exception_fp_ieee_overflow 0
		.amdhsa_exception_fp_ieee_underflow 0
		.amdhsa_exception_fp_ieee_inexact 0
		.amdhsa_exception_int_div_zero 0
	.end_amdhsa_kernel
	.text
.Lfunc_end0:
	.size	fft_rtc_fwd_len156_factors_3_4_13_wgs_117_tpt_13_sp_ip_CI_unitstride_sbrr_R2C_dirReg, .Lfunc_end0-fft_rtc_fwd_len156_factors_3_4_13_wgs_117_tpt_13_sp_ip_CI_unitstride_sbrr_R2C_dirReg
                                        ; -- End function
	.section	.AMDGPU.csdata,"",@progbits
; Kernel info:
; codeLenInByte = 7536
; NumSgprs: 26
; NumVgprs: 117
; ScratchSize: 0
; MemoryBound: 0
; FloatMode: 240
; IeeeMode: 1
; LDSByteSize: 0 bytes/workgroup (compile time only)
; SGPRBlocks: 3
; VGPRBlocks: 29
; NumSGPRsForWavesPerEU: 26
; NumVGPRsForWavesPerEU: 117
; Occupancy: 2
; WaveLimiterHint : 1
; COMPUTE_PGM_RSRC2:SCRATCH_EN: 0
; COMPUTE_PGM_RSRC2:USER_SGPR: 6
; COMPUTE_PGM_RSRC2:TRAP_HANDLER: 0
; COMPUTE_PGM_RSRC2:TGID_X_EN: 1
; COMPUTE_PGM_RSRC2:TGID_Y_EN: 0
; COMPUTE_PGM_RSRC2:TGID_Z_EN: 0
; COMPUTE_PGM_RSRC2:TIDIG_COMP_CNT: 0
	.type	__hip_cuid_985a25a6dea44b96,@object ; @__hip_cuid_985a25a6dea44b96
	.section	.bss,"aw",@nobits
	.globl	__hip_cuid_985a25a6dea44b96
__hip_cuid_985a25a6dea44b96:
	.byte	0                               ; 0x0
	.size	__hip_cuid_985a25a6dea44b96, 1

	.ident	"AMD clang version 19.0.0git (https://github.com/RadeonOpenCompute/llvm-project roc-6.4.0 25133 c7fe45cf4b819c5991fe208aaa96edf142730f1d)"
	.section	".note.GNU-stack","",@progbits
	.addrsig
	.addrsig_sym __hip_cuid_985a25a6dea44b96
	.amdgpu_metadata
---
amdhsa.kernels:
  - .args:
      - .actual_access:  read_only
        .address_space:  global
        .offset:         0
        .size:           8
        .value_kind:     global_buffer
      - .offset:         8
        .size:           8
        .value_kind:     by_value
      - .actual_access:  read_only
        .address_space:  global
        .offset:         16
        .size:           8
        .value_kind:     global_buffer
      - .actual_access:  read_only
        .address_space:  global
        .offset:         24
        .size:           8
        .value_kind:     global_buffer
      - .offset:         32
        .size:           8
        .value_kind:     by_value
      - .actual_access:  read_only
        .address_space:  global
        .offset:         40
        .size:           8
        .value_kind:     global_buffer
      - .actual_access:  read_only
        .address_space:  global
        .offset:         48
        .size:           8
        .value_kind:     global_buffer
      - .offset:         56
        .size:           4
        .value_kind:     by_value
      - .actual_access:  read_only
        .address_space:  global
        .offset:         64
        .size:           8
        .value_kind:     global_buffer
      - .actual_access:  read_only
        .address_space:  global
        .offset:         72
        .size:           8
        .value_kind:     global_buffer
      - .address_space:  global
        .offset:         80
        .size:           8
        .value_kind:     global_buffer
    .group_segment_fixed_size: 0
    .kernarg_segment_align: 8
    .kernarg_segment_size: 88
    .language:       OpenCL C
    .language_version:
      - 2
      - 0
    .max_flat_workgroup_size: 117
    .name:           fft_rtc_fwd_len156_factors_3_4_13_wgs_117_tpt_13_sp_ip_CI_unitstride_sbrr_R2C_dirReg
    .private_segment_fixed_size: 0
    .sgpr_count:     26
    .sgpr_spill_count: 0
    .symbol:         fft_rtc_fwd_len156_factors_3_4_13_wgs_117_tpt_13_sp_ip_CI_unitstride_sbrr_R2C_dirReg.kd
    .uniform_work_group_size: 1
    .uses_dynamic_stack: false
    .vgpr_count:     117
    .vgpr_spill_count: 0
    .wavefront_size: 64
amdhsa.target:   amdgcn-amd-amdhsa--gfx906
amdhsa.version:
  - 1
  - 2
...

	.end_amdgpu_metadata
